;; amdgpu-corpus repo=ROCm/rocFFT kind=compiled arch=gfx906 opt=O3
	.text
	.amdgcn_target "amdgcn-amd-amdhsa--gfx906"
	.amdhsa_code_object_version 6
	.protected	fft_rtc_fwd_len90_factors_3_3_10_wgs_63_tpt_9_halfLds_dp_ip_CI_unitstride_sbrr_C2R_dirReg ; -- Begin function fft_rtc_fwd_len90_factors_3_3_10_wgs_63_tpt_9_halfLds_dp_ip_CI_unitstride_sbrr_C2R_dirReg
	.globl	fft_rtc_fwd_len90_factors_3_3_10_wgs_63_tpt_9_halfLds_dp_ip_CI_unitstride_sbrr_C2R_dirReg
	.p2align	8
	.type	fft_rtc_fwd_len90_factors_3_3_10_wgs_63_tpt_9_halfLds_dp_ip_CI_unitstride_sbrr_C2R_dirReg,@function
fft_rtc_fwd_len90_factors_3_3_10_wgs_63_tpt_9_halfLds_dp_ip_CI_unitstride_sbrr_C2R_dirReg: ; @fft_rtc_fwd_len90_factors_3_3_10_wgs_63_tpt_9_halfLds_dp_ip_CI_unitstride_sbrr_C2R_dirReg
; %bb.0:
	s_load_dwordx2 s[2:3], s[4:5], 0x50
	s_load_dwordx4 s[8:11], s[4:5], 0x0
	s_load_dwordx2 s[12:13], s[4:5], 0x18
	v_mul_u32_u24_e32 v1, 0x1c72, v0
	v_lshrrev_b32_e32 v1, 16, v1
	v_mad_u64_u32 v[1:2], s[0:1], s6, 7, v[1:2]
	v_mov_b32_e32 v5, 0
	s_waitcnt lgkmcnt(0)
	v_cmp_lt_u64_e64 s[0:1], s[10:11], 2
	v_mov_b32_e32 v2, v5
	v_mov_b32_e32 v3, 0
	;; [unrolled: 1-line block ×3, first 2 shown]
	s_and_b64 vcc, exec, s[0:1]
	v_mov_b32_e32 v4, 0
	v_mov_b32_e32 v9, v1
	s_cbranch_vccnz .LBB0_8
; %bb.1:
	s_load_dwordx2 s[0:1], s[4:5], 0x10
	s_add_u32 s6, s12, 8
	s_addc_u32 s7, s13, 0
	v_mov_b32_e32 v3, 0
	v_mov_b32_e32 v8, v2
	s_waitcnt lgkmcnt(0)
	s_add_u32 s16, s0, 8
	s_mov_b64 s[14:15], 1
	v_mov_b32_e32 v4, 0
	s_addc_u32 s17, s1, 0
	v_mov_b32_e32 v7, v1
.LBB0_2:                                ; =>This Inner Loop Header: Depth=1
	s_load_dwordx2 s[18:19], s[16:17], 0x0
                                        ; implicit-def: $vgpr9_vgpr10
	s_waitcnt lgkmcnt(0)
	v_or_b32_e32 v6, s19, v8
	v_cmp_ne_u64_e32 vcc, 0, v[5:6]
	s_and_saveexec_b64 s[0:1], vcc
	s_xor_b64 s[20:21], exec, s[0:1]
	s_cbranch_execz .LBB0_4
; %bb.3:                                ;   in Loop: Header=BB0_2 Depth=1
	v_cvt_f32_u32_e32 v2, s18
	v_cvt_f32_u32_e32 v6, s19
	s_sub_u32 s0, 0, s18
	s_subb_u32 s1, 0, s19
	v_mac_f32_e32 v2, 0x4f800000, v6
	v_rcp_f32_e32 v2, v2
	v_mul_f32_e32 v2, 0x5f7ffffc, v2
	v_mul_f32_e32 v6, 0x2f800000, v2
	v_trunc_f32_e32 v6, v6
	v_mac_f32_e32 v2, 0xcf800000, v6
	v_cvt_u32_f32_e32 v6, v6
	v_cvt_u32_f32_e32 v2, v2
	v_mul_lo_u32 v9, s0, v6
	v_mul_hi_u32 v10, s0, v2
	v_mul_lo_u32 v12, s1, v2
	v_mul_lo_u32 v11, s0, v2
	v_add_u32_e32 v9, v10, v9
	v_add_u32_e32 v9, v9, v12
	v_mul_hi_u32 v10, v2, v11
	v_mul_lo_u32 v12, v2, v9
	v_mul_hi_u32 v14, v2, v9
	v_mul_hi_u32 v13, v6, v11
	v_mul_lo_u32 v11, v6, v11
	v_mul_hi_u32 v15, v6, v9
	v_add_co_u32_e32 v10, vcc, v10, v12
	v_addc_co_u32_e32 v12, vcc, 0, v14, vcc
	v_mul_lo_u32 v9, v6, v9
	v_add_co_u32_e32 v10, vcc, v10, v11
	v_addc_co_u32_e32 v10, vcc, v12, v13, vcc
	v_addc_co_u32_e32 v11, vcc, 0, v15, vcc
	v_add_co_u32_e32 v9, vcc, v10, v9
	v_addc_co_u32_e32 v10, vcc, 0, v11, vcc
	v_add_co_u32_e32 v2, vcc, v2, v9
	v_addc_co_u32_e32 v6, vcc, v6, v10, vcc
	v_mul_lo_u32 v9, s0, v6
	v_mul_hi_u32 v10, s0, v2
	v_mul_lo_u32 v11, s1, v2
	v_mul_lo_u32 v12, s0, v2
	v_add_u32_e32 v9, v10, v9
	v_add_u32_e32 v9, v9, v11
	v_mul_lo_u32 v13, v2, v9
	v_mul_hi_u32 v14, v2, v12
	v_mul_hi_u32 v15, v2, v9
	;; [unrolled: 1-line block ×3, first 2 shown]
	v_mul_lo_u32 v12, v6, v12
	v_mul_hi_u32 v10, v6, v9
	v_add_co_u32_e32 v13, vcc, v14, v13
	v_addc_co_u32_e32 v14, vcc, 0, v15, vcc
	v_mul_lo_u32 v9, v6, v9
	v_add_co_u32_e32 v12, vcc, v13, v12
	v_addc_co_u32_e32 v11, vcc, v14, v11, vcc
	v_addc_co_u32_e32 v10, vcc, 0, v10, vcc
	v_add_co_u32_e32 v9, vcc, v11, v9
	v_addc_co_u32_e32 v10, vcc, 0, v10, vcc
	v_add_co_u32_e32 v2, vcc, v2, v9
	v_addc_co_u32_e32 v6, vcc, v6, v10, vcc
	v_mad_u64_u32 v[9:10], s[0:1], v7, v6, 0
	v_mul_hi_u32 v11, v7, v2
	v_add_co_u32_e32 v13, vcc, v11, v9
	v_addc_co_u32_e32 v14, vcc, 0, v10, vcc
	v_mad_u64_u32 v[9:10], s[0:1], v8, v2, 0
	v_mad_u64_u32 v[11:12], s[0:1], v8, v6, 0
	v_add_co_u32_e32 v2, vcc, v13, v9
	v_addc_co_u32_e32 v2, vcc, v14, v10, vcc
	v_addc_co_u32_e32 v6, vcc, 0, v12, vcc
	v_add_co_u32_e32 v2, vcc, v2, v11
	v_addc_co_u32_e32 v6, vcc, 0, v6, vcc
	v_mul_lo_u32 v11, s19, v2
	v_mul_lo_u32 v12, s18, v6
	v_mad_u64_u32 v[9:10], s[0:1], s18, v2, 0
	v_add3_u32 v10, v10, v12, v11
	v_sub_u32_e32 v11, v8, v10
	v_mov_b32_e32 v12, s19
	v_sub_co_u32_e32 v9, vcc, v7, v9
	v_subb_co_u32_e64 v11, s[0:1], v11, v12, vcc
	v_subrev_co_u32_e64 v12, s[0:1], s18, v9
	v_subbrev_co_u32_e64 v11, s[0:1], 0, v11, s[0:1]
	v_cmp_le_u32_e64 s[0:1], s19, v11
	v_cndmask_b32_e64 v13, 0, -1, s[0:1]
	v_cmp_le_u32_e64 s[0:1], s18, v12
	v_cndmask_b32_e64 v12, 0, -1, s[0:1]
	v_cmp_eq_u32_e64 s[0:1], s19, v11
	v_cndmask_b32_e64 v11, v13, v12, s[0:1]
	v_add_co_u32_e64 v12, s[0:1], 2, v2
	v_addc_co_u32_e64 v13, s[0:1], 0, v6, s[0:1]
	v_add_co_u32_e64 v14, s[0:1], 1, v2
	v_addc_co_u32_e64 v15, s[0:1], 0, v6, s[0:1]
	v_subb_co_u32_e32 v10, vcc, v8, v10, vcc
	v_cmp_ne_u32_e64 s[0:1], 0, v11
	v_cmp_le_u32_e32 vcc, s19, v10
	v_cndmask_b32_e64 v11, v15, v13, s[0:1]
	v_cndmask_b32_e64 v13, 0, -1, vcc
	v_cmp_le_u32_e32 vcc, s18, v9
	v_cndmask_b32_e64 v9, 0, -1, vcc
	v_cmp_eq_u32_e32 vcc, s19, v10
	v_cndmask_b32_e32 v9, v13, v9, vcc
	v_cmp_ne_u32_e32 vcc, 0, v9
	v_cndmask_b32_e32 v10, v6, v11, vcc
	v_cndmask_b32_e64 v6, v14, v12, s[0:1]
	v_cndmask_b32_e32 v9, v2, v6, vcc
.LBB0_4:                                ;   in Loop: Header=BB0_2 Depth=1
	s_andn2_saveexec_b64 s[0:1], s[20:21]
	s_cbranch_execz .LBB0_6
; %bb.5:                                ;   in Loop: Header=BB0_2 Depth=1
	v_cvt_f32_u32_e32 v2, s18
	s_sub_i32 s20, 0, s18
	v_rcp_iflag_f32_e32 v2, v2
	v_mul_f32_e32 v2, 0x4f7ffffe, v2
	v_cvt_u32_f32_e32 v2, v2
	v_mul_lo_u32 v6, s20, v2
	v_mul_hi_u32 v6, v2, v6
	v_add_u32_e32 v2, v2, v6
	v_mul_hi_u32 v2, v7, v2
	v_mul_lo_u32 v6, v2, s18
	v_add_u32_e32 v9, 1, v2
	v_sub_u32_e32 v6, v7, v6
	v_subrev_u32_e32 v10, s18, v6
	v_cmp_le_u32_e32 vcc, s18, v6
	v_cndmask_b32_e32 v6, v6, v10, vcc
	v_cndmask_b32_e32 v2, v2, v9, vcc
	v_add_u32_e32 v9, 1, v2
	v_cmp_le_u32_e32 vcc, s18, v6
	v_cndmask_b32_e32 v9, v2, v9, vcc
	v_mov_b32_e32 v10, v5
.LBB0_6:                                ;   in Loop: Header=BB0_2 Depth=1
	s_or_b64 exec, exec, s[0:1]
	v_mul_lo_u32 v2, v10, s18
	v_mul_lo_u32 v6, v9, s19
	v_mad_u64_u32 v[11:12], s[0:1], v9, s18, 0
	s_load_dwordx2 s[0:1], s[6:7], 0x0
	s_add_u32 s14, s14, 1
	v_add3_u32 v2, v12, v6, v2
	v_sub_co_u32_e32 v6, vcc, v7, v11
	v_subb_co_u32_e32 v2, vcc, v8, v2, vcc
	s_waitcnt lgkmcnt(0)
	v_mul_lo_u32 v2, s0, v2
	v_mul_lo_u32 v7, s1, v6
	v_mad_u64_u32 v[3:4], s[0:1], s0, v6, v[3:4]
	s_addc_u32 s15, s15, 0
	s_add_u32 s6, s6, 8
	v_add3_u32 v4, v7, v4, v2
	v_mov_b32_e32 v6, s10
	v_mov_b32_e32 v7, s11
	s_addc_u32 s7, s7, 0
	v_cmp_ge_u64_e32 vcc, s[14:15], v[6:7]
	s_add_u32 s16, s16, 8
	s_addc_u32 s17, s17, 0
	s_cbranch_vccnz .LBB0_8
; %bb.7:                                ;   in Loop: Header=BB0_2 Depth=1
	v_mov_b32_e32 v7, v9
	v_mov_b32_e32 v8, v10
	s_branch .LBB0_2
.LBB0_8:
	s_lshl_b64 s[0:1], s[10:11], 3
	s_add_u32 s0, s12, s0
	s_addc_u32 s1, s13, s1
	s_load_dwordx2 s[6:7], s[0:1], 0x0
	s_load_dwordx2 s[10:11], s[4:5], 0x20
	s_mov_b32 s0, 0x24924925
	v_mul_hi_u32 v5, v1, s0
	s_waitcnt lgkmcnt(0)
	v_mad_u64_u32 v[2:3], s[0:1], s6, v9, v[3:4]
	v_sub_u32_e32 v4, v1, v5
	v_lshrrev_b32_e32 v4, 1, v4
	v_add_u32_e32 v4, v4, v5
	v_lshrrev_b32_e32 v4, 2, v4
	v_mul_lo_u32 v6, s6, v10
	v_mul_lo_u32 v7, s7, v9
	;; [unrolled: 1-line block ×3, first 2 shown]
	s_mov_b32 s0, 0x1c71c71d
	v_mul_hi_u32 v5, v0, s0
	v_add3_u32 v3, v7, v3, v6
	v_sub_u32_e32 v1, v1, v4
	v_mul_u32_u24_e32 v12, 0x5b, v1
	v_cmp_gt_u64_e32 vcc, s[10:11], v[9:10]
	v_mul_u32_u24_e32 v1, 9, v5
	v_lshlrev_b64 v[50:51], 4, v[2:3]
	v_sub_u32_e32 v48, v0, v1
	v_lshlrev_b32_e32 v54, 4, v12
	s_and_saveexec_b64 s[4:5], vcc
	s_cbranch_execz .LBB0_12
; %bb.9:
	v_mov_b32_e32 v49, 0
	v_mov_b32_e32 v1, s3
	v_add_co_u32_e64 v0, s[0:1], s2, v50
	v_lshlrev_b64 v[2:3], 4, v[48:49]
	v_addc_co_u32_e64 v1, s[0:1], v1, v51, s[0:1]
	v_add_co_u32_e64 v45, s[0:1], v0, v2
	v_addc_co_u32_e64 v46, s[0:1], v1, v3, s[0:1]
	global_load_dwordx4 v[3:6], v[45:46], off
	global_load_dwordx4 v[7:10], v[45:46], off offset:144
	global_load_dwordx4 v[13:16], v[45:46], off offset:288
	;; [unrolled: 1-line block ×9, first 2 shown]
	v_lshlrev_b32_e32 v2, 4, v48
	v_add3_u32 v2, 0, v54, v2
	v_cmp_eq_u32_e64 s[0:1], 8, v48
	s_waitcnt vmcnt(9)
	ds_write_b128 v2, v[3:6]
	s_waitcnt vmcnt(8)
	ds_write_b128 v2, v[7:10] offset:144
	s_waitcnt vmcnt(7)
	ds_write_b128 v2, v[13:16] offset:288
	;; [unrolled: 2-line block ×9, first 2 shown]
	s_and_saveexec_b64 s[6:7], s[0:1]
	s_cbranch_execz .LBB0_11
; %bb.10:
	global_load_dwordx4 v[3:6], v[0:1], off offset:1440
	v_mov_b32_e32 v48, 8
	s_waitcnt vmcnt(0)
	ds_write_b128 v2, v[3:6] offset:1312
.LBB0_11:
	s_or_b64 exec, exec, s[6:7]
.LBB0_12:
	s_or_b64 exec, exec, s[4:5]
	v_lshl_add_u32 v52, v12, 4, 0
	v_lshlrev_b32_e32 v0, 4, v48
	v_add_u32_e32 v53, v52, v0
	s_waitcnt lgkmcnt(0)
	; wave barrier
	s_waitcnt lgkmcnt(0)
	v_sub_u32_e32 v10, v52, v0
	ds_read_b64 v[6:7], v53
	ds_read_b64 v[8:9], v10 offset:1440
	v_cmp_ne_u32_e64 s[0:1], 0, v48
                                        ; implicit-def: $vgpr4_vgpr5
	s_waitcnt lgkmcnt(0)
	v_add_f64 v[0:1], v[6:7], v[8:9]
	v_add_f64 v[2:3], v[6:7], -v[8:9]
	s_and_saveexec_b64 s[4:5], s[0:1]
	s_xor_b64 s[4:5], exec, s[4:5]
	s_cbranch_execz .LBB0_14
; %bb.13:
	v_mov_b32_e32 v49, 0
	v_lshlrev_b64 v[0:1], 4, v[48:49]
	v_mov_b32_e32 v2, s9
	v_add_co_u32_e64 v0, s[0:1], s8, v0
	v_addc_co_u32_e64 v1, s[0:1], v2, v1, s[0:1]
	global_load_dwordx4 v[2:5], v[0:1], off offset:1392
	ds_read_b64 v[0:1], v10 offset:1448
	ds_read_b64 v[13:14], v53 offset:8
	v_add_f64 v[15:16], v[6:7], v[8:9]
	v_add_f64 v[8:9], v[6:7], -v[8:9]
	s_waitcnt lgkmcnt(0)
	v_add_f64 v[17:18], v[0:1], v[13:14]
	v_add_f64 v[0:1], v[13:14], -v[0:1]
	s_waitcnt vmcnt(0)
	v_fma_f64 v[6:7], -v[8:9], v[4:5], v[15:16]
	v_fma_f64 v[13:14], v[17:18], v[4:5], -v[0:1]
	v_fma_f64 v[15:16], v[8:9], v[4:5], v[15:16]
	v_fma_f64 v[19:20], v[17:18], v[4:5], v[0:1]
	;; [unrolled: 1-line block ×4, first 2 shown]
	v_fma_f64 v[0:1], -v[17:18], v[2:3], v[15:16]
	v_fma_f64 v[2:3], v[8:9], v[2:3], v[19:20]
	ds_write_b128 v10, v[4:7] offset:1440
	v_mov_b32_e32 v4, v48
	v_mov_b32_e32 v5, v49
.LBB0_14:
	s_andn2_saveexec_b64 s[0:1], s[4:5]
	s_cbranch_execz .LBB0_16
; %bb.15:
	ds_read_b128 v[4:7], v52 offset:720
	s_waitcnt lgkmcnt(0)
	v_add_f64 v[13:14], v[4:5], v[4:5]
	v_mul_f64 v[15:16], v[6:7], -2.0
	v_mov_b32_e32 v4, 0
	v_mov_b32_e32 v5, 0
	ds_write_b128 v52, v[13:16] offset:720
.LBB0_16:
	s_or_b64 exec, exec, s[0:1]
	s_add_u32 s0, s8, 0x570
	v_lshlrev_b64 v[4:5], 4, v[4:5]
	s_addc_u32 s1, s9, 0
	v_mov_b32_e32 v6, s1
	v_add_co_u32_e64 v25, s[0:1], s0, v4
	v_addc_co_u32_e64 v26, s[0:1], v6, v5, s[0:1]
	global_load_dwordx4 v[4:7], v[25:26], off offset:144
	global_load_dwordx4 v[13:16], v[25:26], off offset:288
	ds_write_b128 v53, v[0:3]
	ds_read_b128 v[0:3], v53 offset:144
	ds_read_b128 v[17:20], v10 offset:1296
	global_load_dwordx4 v[21:24], v[25:26], off offset:432
	s_mov_b32 s0, 0xe8584caa
	s_mov_b32 s1, 0x3febb67a
	;; [unrolled: 1-line block ×3, first 2 shown]
	s_waitcnt lgkmcnt(0)
	v_add_f64 v[8:9], v[0:1], v[17:18]
	v_add_f64 v[27:28], v[19:20], v[2:3]
	v_add_f64 v[17:18], v[0:1], -v[17:18]
	v_add_f64 v[0:1], v[2:3], -v[19:20]
	s_mov_b32 s4, s0
	s_waitcnt vmcnt(2)
	v_fma_f64 v[2:3], v[17:18], v[6:7], v[8:9]
	v_fma_f64 v[19:20], v[27:28], v[6:7], v[0:1]
	v_fma_f64 v[8:9], -v[17:18], v[6:7], v[8:9]
	v_fma_f64 v[29:30], v[27:28], v[6:7], -v[0:1]
	v_fma_f64 v[0:1], -v[27:28], v[4:5], v[2:3]
	v_fma_f64 v[2:3], v[17:18], v[4:5], v[19:20]
	v_fma_f64 v[6:7], v[27:28], v[4:5], v[8:9]
	v_fma_f64 v[8:9], v[17:18], v[4:5], v[29:30]
	ds_write_b128 v53, v[0:3] offset:144
	ds_write_b128 v10, v[6:9] offset:1296
	ds_read_b128 v[0:3], v53 offset:288
	ds_read_b128 v[4:7], v10 offset:1152
	global_load_dwordx4 v[17:20], v[25:26], off offset:576
	s_waitcnt lgkmcnt(0)
	v_add_f64 v[8:9], v[0:1], v[4:5]
	v_add_f64 v[25:26], v[6:7], v[2:3]
	v_add_f64 v[27:28], v[0:1], -v[4:5]
	v_add_f64 v[0:1], v[2:3], -v[6:7]
	s_waitcnt vmcnt(2)
	v_fma_f64 v[2:3], v[27:28], v[15:16], v[8:9]
	v_fma_f64 v[4:5], v[25:26], v[15:16], v[0:1]
	v_fma_f64 v[6:7], -v[27:28], v[15:16], v[8:9]
	v_fma_f64 v[8:9], v[25:26], v[15:16], -v[0:1]
	v_fma_f64 v[0:1], -v[25:26], v[13:14], v[2:3]
	v_fma_f64 v[2:3], v[27:28], v[13:14], v[4:5]
	v_fma_f64 v[4:5], v[25:26], v[13:14], v[6:7]
	;; [unrolled: 1-line block ×3, first 2 shown]
	v_xor_b32_e32 v8, 63, v48
	ds_write_b128 v53, v[0:3] offset:288
	ds_write_b128 v10, v[4:7] offset:1152
	v_lshl_add_u32 v11, v8, 4, v52
	ds_read_b128 v[0:3], v53 offset:432
	ds_read_b128 v[4:7], v11
	s_waitcnt lgkmcnt(0)
	v_add_f64 v[8:9], v[0:1], v[4:5]
	v_add_f64 v[13:14], v[6:7], v[2:3]
	v_add_f64 v[15:16], v[0:1], -v[4:5]
	v_add_f64 v[0:1], v[2:3], -v[6:7]
	s_waitcnt vmcnt(1)
	v_fma_f64 v[2:3], v[15:16], v[23:24], v[8:9]
	v_fma_f64 v[4:5], v[13:14], v[23:24], v[0:1]
	v_fma_f64 v[6:7], -v[15:16], v[23:24], v[8:9]
	v_fma_f64 v[8:9], v[13:14], v[23:24], -v[0:1]
	v_fma_f64 v[0:1], -v[13:14], v[21:22], v[2:3]
	v_fma_f64 v[2:3], v[15:16], v[21:22], v[4:5]
	v_fma_f64 v[4:5], v[13:14], v[21:22], v[6:7]
	;; [unrolled: 1-line block ×3, first 2 shown]
	ds_write_b128 v53, v[0:3] offset:432
	ds_write_b128 v11, v[4:7]
	ds_read_b128 v[0:3], v53 offset:576
	ds_read_b128 v[4:7], v10 offset:864
	v_lshl_add_u32 v11, v48, 4, 0
	v_add_u32_e32 v49, v11, v54
	s_waitcnt lgkmcnt(0)
	v_add_f64 v[8:9], v[0:1], v[4:5]
	v_add_f64 v[13:14], v[6:7], v[2:3]
	v_add_f64 v[15:16], v[0:1], -v[4:5]
	v_add_f64 v[0:1], v[2:3], -v[6:7]
	s_waitcnt vmcnt(0)
	v_fma_f64 v[2:3], v[15:16], v[19:20], v[8:9]
	v_fma_f64 v[4:5], v[13:14], v[19:20], v[0:1]
	v_fma_f64 v[6:7], -v[15:16], v[19:20], v[8:9]
	v_fma_f64 v[8:9], v[13:14], v[19:20], -v[0:1]
	v_fma_f64 v[0:1], -v[13:14], v[17:18], v[2:3]
	v_fma_f64 v[2:3], v[15:16], v[17:18], v[4:5]
	v_fma_f64 v[4:5], v[13:14], v[17:18], v[6:7]
	;; [unrolled: 1-line block ×3, first 2 shown]
	v_lshl_add_u32 v8, v48, 5, v11
	v_add_u32_e32 v87, v8, v54
	v_add_u32_e32 v13, 0x360, v8
	ds_write_b128 v53, v[0:3] offset:576
	ds_write_b128 v10, v[4:7] offset:864
	s_waitcnt lgkmcnt(0)
	; wave barrier
	s_waitcnt lgkmcnt(0)
	s_waitcnt lgkmcnt(0)
	; wave barrier
	s_waitcnt lgkmcnt(0)
	ds_read_b128 v[0:3], v53
	ds_read_b128 v[4:7], v49 offset:144
	ds_read_b128 v[8:11], v49 offset:480
	;; [unrolled: 1-line block ×11, first 2 shown]
	s_waitcnt lgkmcnt(8)
	v_add_f64 v[69:70], v[4:5], v[14:15]
	v_add_f64 v[71:72], v[6:7], v[16:17]
	;; [unrolled: 1-line block ×4, first 2 shown]
	s_waitcnt lgkmcnt(7)
	v_add_f64 v[61:62], v[8:9], v[18:19]
	v_add_f64 v[65:66], v[10:11], v[20:21]
	s_waitcnt lgkmcnt(6)
	v_add_f64 v[73:74], v[14:15], v[22:23]
	v_add_f64 v[75:76], v[16:17], -v[24:25]
	v_add_f64 v[77:78], v[16:17], v[24:25]
	v_add_f64 v[79:80], v[14:15], -v[22:23]
	s_waitcnt lgkmcnt(3)
	v_add_f64 v[81:82], v[26:27], v[34:35]
	v_add_f64 v[83:84], v[28:29], v[36:37]
	;; [unrolled: 1-line block ×4, first 2 shown]
	s_waitcnt lgkmcnt(0)
	v_add_f64 v[22:23], v[38:39], v[55:56]
	v_add_f64 v[24:25], v[40:41], v[57:58]
	v_add_f64 v[63:64], v[10:11], -v[20:21]
	v_add_f64 v[67:68], v[8:9], -v[18:19]
	v_add_f64 v[8:9], v[46:47], v[18:19]
	v_add_f64 v[10:11], v[59:60], v[20:21]
	;; [unrolled: 1-line block ×3, first 2 shown]
	v_add_f64 v[59:60], v[36:37], -v[44:45]
	v_add_f64 v[36:37], v[36:37], v[44:45]
	v_add_f64 v[85:86], v[34:35], -v[42:43]
	v_add_f64 v[18:19], v[81:82], v[42:43]
	v_add_f64 v[20:21], v[83:84], v[44:45]
	;; [unrolled: 1-line block ×4, first 2 shown]
	v_add_f64 v[40:41], v[40:41], -v[57:58]
	v_add_f64 v[38:39], v[38:39], -v[55:56]
	v_fma_f64 v[44:45], v[61:62], -0.5, v[0:1]
	v_fma_f64 v[61:62], v[65:66], -0.5, v[2:3]
	;; [unrolled: 1-line block ×8, first 2 shown]
	v_add_u32_e32 v88, v13, v54
	s_waitcnt lgkmcnt(0)
	; wave barrier
	v_add_f64 v[2:3], v[34:35], v[57:58]
	v_add_f64 v[0:1], v[42:43], v[55:56]
	v_fma_f64 v[22:23], v[63:64], s[0:1], v[44:45]
	v_fma_f64 v[24:25], v[67:68], s[4:5], v[61:62]
	;; [unrolled: 1-line block ×6, first 2 shown]
	ds_write_b128 v87, v[8:11]
	ds_write_b128 v87, v[14:17] offset:432
	ds_write_b128 v88, v[18:21]
	v_fma_f64 v[4:5], v[40:41], s[0:1], v[69:70]
	v_fma_f64 v[8:9], v[40:41], s[4:5], v[69:70]
	;; [unrolled: 1-line block ×10, first 2 shown]
	v_cmp_gt_u32_e64 s[0:1], 3, v48
	ds_write_b128 v87, v[22:25] offset:16
	ds_write_b128 v87, v[26:29] offset:32
	;; [unrolled: 1-line block ×4, first 2 shown]
	ds_write2_b64 v88, v[14:15], v[16:17] offset0:2 offset1:3
	ds_write2_b64 v88, v[18:19], v[20:21] offset0:4 offset1:5
	s_and_saveexec_b64 s[4:5], s[0:1]
	s_cbranch_execz .LBB0_18
; %bb.17:
	v_lshl_add_u32 v12, v12, 4, v13
	ds_write2_b64 v12, v[2:3], v[4:5] offset0:55 offset1:56
	ds_write2_b64 v12, v[0:1], v[6:7] offset0:54 offset1:57
	;; [unrolled: 1-line block ×3, first 2 shown]
.LBB0_18:
	s_or_b64 exec, exec, s[4:5]
	s_waitcnt lgkmcnt(0)
	; wave barrier
	s_waitcnt lgkmcnt(0)
	ds_read_b128 v[20:23], v53
	ds_read_b128 v[16:19], v49 offset:144
	ds_read_b128 v[40:43], v49 offset:960
	;; [unrolled: 1-line block ×8, first 2 shown]
	s_and_saveexec_b64 s[4:5], s[0:1]
	s_cbranch_execz .LBB0_20
; %bb.19:
	ds_read_b128 v[4:7], v49 offset:912
	ds_read_b128 v[0:3], v49 offset:432
	;; [unrolled: 1-line block ×3, first 2 shown]
.LBB0_20:
	s_or_b64 exec, exec, s[4:5]
	s_movk_i32 s12, 0xab
	v_mul_lo_u16_sdwa v55, v48, s12 dst_sel:DWORD dst_unused:UNUSED_PAD src0_sel:BYTE_0 src1_sel:DWORD
	v_lshrrev_b16_e32 v62, 9, v55
	v_mul_lo_u16_e32 v55, 3, v62
	v_sub_u16_e32 v63, v48, v55
	v_mov_b32_e32 v55, 5
	v_lshlrev_b32_sdwa v64, v55, v63 dst_sel:DWORD dst_unused:UNUSED_PAD src0_sel:DWORD src1_sel:BYTE_0
	global_load_dwordx4 v[56:59], v64, s[8:9]
	s_movk_i32 s10, 0x90
	s_mov_b32 s4, 0xe8584caa
	s_mov_b32 s5, 0x3febb67a
	;; [unrolled: 1-line block ×4, first 2 shown]
	s_waitcnt vmcnt(0) lgkmcnt(4)
	v_mul_f64 v[60:61], v[46:47], v[58:59]
	v_mul_f64 v[58:59], v[44:45], v[58:59]
	v_fma_f64 v[60:61], v[44:45], v[56:57], -v[60:61]
	v_fma_f64 v[56:57], v[46:47], v[56:57], v[58:59]
	global_load_dwordx4 v[44:47], v64, s[8:9] offset:16
	v_add_u16_e32 v64, 9, v48
	v_mul_lo_u16_sdwa v65, v64, s12 dst_sel:DWORD dst_unused:UNUSED_PAD src0_sel:BYTE_0 src1_sel:DWORD
	v_lshrrev_b16_e32 v65, 9, v65
	v_mul_lo_u16_e32 v66, 3, v65
	v_sub_u16_e32 v64, v64, v66
	v_lshlrev_b32_sdwa v66, v55, v64 dst_sel:DWORD dst_unused:UNUSED_PAD src0_sel:DWORD src1_sel:BYTE_0
	s_waitcnt vmcnt(0)
	v_mul_f64 v[58:59], v[42:43], v[46:47]
	v_mul_f64 v[46:47], v[40:41], v[46:47]
	v_fma_f64 v[58:59], v[40:41], v[44:45], -v[58:59]
	v_fma_f64 v[44:45], v[42:43], v[44:45], v[46:47]
	global_load_dwordx4 v[40:43], v66, s[8:9]
	s_waitcnt vmcnt(0) lgkmcnt(2)
	v_mul_f64 v[46:47], v[38:39], v[42:43]
	v_mul_f64 v[42:43], v[36:37], v[42:43]
	v_fma_f64 v[46:47], v[36:37], v[40:41], -v[46:47]
	v_fma_f64 v[40:41], v[38:39], v[40:41], v[42:43]
	global_load_dwordx4 v[36:39], v66, s[8:9] offset:16
	v_add_u16_e32 v66, 18, v48
	s_waitcnt vmcnt(0)
	v_mul_f64 v[42:43], v[34:35], v[38:39]
	v_mul_f64 v[38:39], v[32:33], v[38:39]
	v_fma_f64 v[42:43], v[32:33], v[36:37], -v[42:43]
	v_mul_lo_u16_sdwa v32, v66, s12 dst_sel:DWORD dst_unused:UNUSED_PAD src0_sel:BYTE_0 src1_sel:DWORD
	v_lshrrev_b16_e32 v67, 9, v32
	v_mul_lo_u16_e32 v32, 3, v67
	v_sub_u16_e32 v66, v66, v32
	v_lshlrev_b32_sdwa v68, v55, v66 dst_sel:DWORD dst_unused:UNUSED_PAD src0_sel:DWORD src1_sel:BYTE_0
	v_fma_f64 v[36:37], v[34:35], v[36:37], v[38:39]
	global_load_dwordx4 v[32:35], v68, s[8:9]
	v_mad_u32_u24 v70, v67, s10, 0
	s_waitcnt vmcnt(0) lgkmcnt(1)
	v_mul_f64 v[38:39], v[30:31], v[34:35]
	v_fma_f64 v[38:39], v[28:29], v[32:33], -v[38:39]
	v_mul_f64 v[28:29], v[28:29], v[34:35]
	v_fma_f64 v[32:33], v[30:31], v[32:33], v[28:29]
	global_load_dwordx4 v[28:31], v68, s[8:9] offset:16
	v_add_f64 v[68:69], v[40:41], v[36:37]
	s_waitcnt lgkmcnt(0)
	; wave barrier
	s_waitcnt vmcnt(0) lgkmcnt(0)
	v_mul_f64 v[34:35], v[26:27], v[30:31]
	v_fma_f64 v[34:35], v[24:25], v[28:29], -v[34:35]
	v_mul_f64 v[24:25], v[24:25], v[30:31]
	v_mad_u32_u24 v31, v62, s10, 0
	v_mad_u32_u24 v62, v65, s10, 0
	v_fma_f64 v[29:30], v[26:27], v[28:29], v[24:25]
	v_add_f64 v[27:28], v[22:23], v[56:57]
	v_add_f64 v[25:26], v[20:21], v[60:61]
	v_mov_b32_e32 v24, 4
	v_lshlrev_b32_sdwa v63, v24, v63 dst_sel:DWORD dst_unused:UNUSED_PAD src0_sel:DWORD src1_sel:BYTE_0
	v_lshlrev_b32_sdwa v64, v24, v64 dst_sel:DWORD dst_unused:UNUSED_PAD src0_sel:DWORD src1_sel:BYTE_0
	;; [unrolled: 1-line block ×3, first 2 shown]
	v_add3_u32 v74, v31, v63, v54
	v_add3_u32 v75, v62, v64, v54
	v_add_f64 v[62:63], v[60:61], v[58:59]
	v_add_f64 v[64:65], v[56:57], v[44:45]
	v_add_f64 v[56:57], v[56:57], -v[44:45]
	v_add_f64 v[27:28], v[27:28], v[44:45]
	v_add_f64 v[44:45], v[16:17], v[46:47]
	;; [unrolled: 1-line block ×3, first 2 shown]
	v_add_f64 v[60:61], v[60:61], -v[58:59]
	v_add_f64 v[25:26], v[25:26], v[58:59]
	v_add_f64 v[58:59], v[18:19], v[40:41]
	v_fma_f64 v[62:63], v[62:63], -0.5, v[20:21]
	v_add_f64 v[46:47], v[46:47], -v[42:43]
	v_fma_f64 v[64:65], v[64:65], -0.5, v[22:23]
	v_add_f64 v[20:21], v[44:45], v[42:43]
	v_add_f64 v[42:43], v[38:39], v[34:35]
	v_fma_f64 v[44:45], v[66:67], -0.5, v[16:17]
	v_add_f64 v[66:67], v[32:33], v[29:30]
	v_add_f64 v[22:23], v[58:59], v[36:37]
	v_fma_f64 v[58:59], v[68:69], -0.5, v[18:19]
	v_add_f64 v[18:19], v[14:15], v[32:33]
	v_add_f64 v[40:41], v[40:41], -v[36:37]
	v_add_f64 v[36:37], v[12:13], v[38:39]
	v_add3_u32 v76, v70, v71, v54
	v_add_f64 v[68:69], v[32:33], -v[29:30]
	v_add_f64 v[70:71], v[38:39], -v[34:35]
	v_fma_f64 v[72:73], v[42:43], -0.5, v[12:13]
	v_fma_f64 v[66:67], v[66:67], -0.5, v[14:15]
	v_fma_f64 v[12:13], v[56:57], s[4:5], v[62:63]
	v_fma_f64 v[14:15], v[60:61], s[6:7], v[64:65]
	v_add_f64 v[18:19], v[18:19], v[29:30]
	v_fma_f64 v[29:30], v[56:57], s[6:7], v[62:63]
	v_fma_f64 v[31:32], v[60:61], s[4:5], v[64:65]
	v_add_f64 v[16:17], v[36:37], v[34:35]
	v_fma_f64 v[33:34], v[40:41], s[4:5], v[44:45]
	v_fma_f64 v[35:36], v[46:47], s[6:7], v[58:59]
	;; [unrolled: 1-line block ×8, first 2 shown]
	ds_write_b128 v74, v[25:28]
	ds_write_b128 v74, v[12:15] offset:48
	ds_write_b128 v74, v[29:32] offset:96
	ds_write_b128 v75, v[20:23]
	ds_write_b128 v75, v[33:36] offset:48
	ds_write_b128 v75, v[37:40] offset:96
	;; [unrolled: 3-line block ×3, first 2 shown]
	s_and_saveexec_b64 s[10:11], s[0:1]
	s_cbranch_execz .LBB0_22
; %bb.21:
	v_add_u16_e32 v12, 27, v48
	v_mul_lo_u16_sdwa v13, v12, s12 dst_sel:DWORD dst_unused:UNUSED_PAD src0_sel:BYTE_0 src1_sel:DWORD
	v_lshrrev_b16_e32 v13, 9, v13
	v_mul_lo_u16_e32 v13, 3, v13
	v_sub_u16_e32 v25, v12, v13
	v_lshlrev_b32_sdwa v20, v55, v25 dst_sel:DWORD dst_unused:UNUSED_PAD src0_sel:DWORD src1_sel:BYTE_0
	global_load_dwordx4 v[12:15], v20, s[8:9]
	global_load_dwordx4 v[16:19], v20, s[8:9] offset:16
	s_waitcnt vmcnt(1)
	v_mul_f64 v[20:21], v[4:5], v[14:15]
	s_waitcnt vmcnt(0)
	v_mul_f64 v[22:23], v[8:9], v[18:19]
	v_mul_f64 v[14:15], v[6:7], v[14:15]
	;; [unrolled: 1-line block ×3, first 2 shown]
	v_fma_f64 v[6:7], v[6:7], v[12:13], v[20:21]
	v_fma_f64 v[10:11], v[10:11], v[16:17], v[22:23]
	v_fma_f64 v[4:5], v[4:5], v[12:13], -v[14:15]
	v_fma_f64 v[8:9], v[8:9], v[16:17], -v[18:19]
	v_add_f64 v[18:19], v[2:3], v[6:7]
	v_add_f64 v[12:13], v[6:7], v[10:11]
	v_add_f64 v[20:21], v[6:7], -v[10:11]
	v_add_f64 v[14:15], v[4:5], v[8:9]
	v_add_f64 v[16:17], v[4:5], -v[8:9]
	v_add_f64 v[4:5], v[0:1], v[4:5]
	v_fma_f64 v[12:13], v[12:13], -0.5, v[2:3]
	v_add_f64 v[2:3], v[18:19], v[10:11]
	v_fma_f64 v[14:15], v[14:15], -0.5, v[0:1]
	v_add_f64 v[0:1], v[4:5], v[8:9]
	v_fma_f64 v[10:11], v[16:17], s[6:7], v[12:13]
	v_fma_f64 v[6:7], v[16:17], s[4:5], v[12:13]
	;; [unrolled: 1-line block ×4, first 2 shown]
	v_lshlrev_b32_sdwa v12, v24, v25 dst_sel:DWORD dst_unused:UNUSED_PAD src0_sel:DWORD src1_sel:BYTE_0
	v_add3_u32 v12, 0, v12, v54
	ds_write_b128 v12, v[0:3] offset:1296
	ds_write_b128 v12, v[8:11] offset:1344
	;; [unrolled: 1-line block ×3, first 2 shown]
.LBB0_22:
	s_or_b64 exec, exec, s[10:11]
	v_mul_u32_u24_e32 v0, 9, v48
	v_lshlrev_b32_e32 v36, 4, v0
	s_waitcnt lgkmcnt(0)
	; wave barrier
	s_waitcnt lgkmcnt(0)
	global_load_dwordx4 v[0:3], v36, s[8:9] offset:96
	global_load_dwordx4 v[4:7], v36, s[8:9] offset:112
	;; [unrolled: 1-line block ×9, first 2 shown]
	ds_read_b128 v[36:39], v49 offset:144
	ds_read_b128 v[40:43], v53
	ds_read_b128 v[44:47], v49 offset:288
	ds_read_b128 v[53:56], v49 offset:432
	;; [unrolled: 1-line block ×6, first 2 shown]
	s_mov_b32 s0, 0x134454ff
	s_mov_b32 s1, 0x3fee6f0e
	;; [unrolled: 1-line block ×12, first 2 shown]
	s_waitcnt vmcnt(8) lgkmcnt(7)
	v_mul_f64 v[73:74], v[38:39], v[2:3]
	s_waitcnt vmcnt(7) lgkmcnt(5)
	v_mul_f64 v[77:78], v[46:47], v[6:7]
	v_mul_f64 v[6:7], v[44:45], v[6:7]
	;; [unrolled: 1-line block ×3, first 2 shown]
	v_fma_f64 v[73:74], v[36:37], v[0:1], -v[73:74]
	v_fma_f64 v[44:45], v[44:45], v[4:5], -v[77:78]
	v_fma_f64 v[4:5], v[46:47], v[4:5], v[6:7]
	s_waitcnt vmcnt(6) lgkmcnt(4)
	v_mul_f64 v[6:7], v[55:56], v[10:11]
	v_mul_f64 v[10:11], v[53:54], v[10:11]
	v_fma_f64 v[75:76], v[38:39], v[0:1], v[2:3]
	ds_read_b128 v[0:3], v49 offset:1152
	ds_read_b128 v[36:39], v49 offset:1296
	s_waitcnt vmcnt(5) lgkmcnt(5)
	v_mul_f64 v[46:47], v[59:60], v[14:15]
	v_mul_f64 v[14:15], v[57:58], v[14:15]
	s_waitcnt lgkmcnt(0)
	; wave barrier
	s_waitcnt lgkmcnt(0)
	v_fma_f64 v[6:7], v[53:54], v[8:9], -v[6:7]
	v_fma_f64 v[8:9], v[55:56], v[8:9], v[10:11]
	s_waitcnt vmcnt(4)
	v_mul_f64 v[10:11], v[63:64], v[18:19]
	v_mul_f64 v[18:19], v[61:62], v[18:19]
	s_waitcnt vmcnt(3)
	v_mul_f64 v[53:54], v[67:68], v[22:23]
	s_waitcnt vmcnt(1)
	v_mul_f64 v[55:56], v[0:1], v[30:31]
	v_mul_f64 v[30:31], v[2:3], v[30:31]
	;; [unrolled: 1-line block ×3, first 2 shown]
	v_fma_f64 v[46:47], v[57:58], v[12:13], -v[46:47]
	v_fma_f64 v[12:13], v[59:60], v[12:13], v[14:15]
	v_mul_f64 v[14:15], v[71:72], v[26:27]
	v_mul_f64 v[26:27], v[69:70], v[26:27]
	v_fma_f64 v[10:11], v[61:62], v[16:17], -v[10:11]
	v_fma_f64 v[16:17], v[63:64], v[16:17], v[18:19]
	s_waitcnt vmcnt(0)
	v_mul_f64 v[18:19], v[38:39], v[34:35]
	v_mul_f64 v[34:35], v[36:37], v[34:35]
	v_fma_f64 v[53:54], v[65:66], v[20:21], -v[53:54]
	v_fma_f64 v[0:1], v[0:1], v[28:29], -v[30:31]
	v_fma_f64 v[20:21], v[67:68], v[20:21], v[22:23]
	v_fma_f64 v[2:3], v[2:3], v[28:29], v[55:56]
	v_fma_f64 v[14:15], v[69:70], v[24:25], -v[14:15]
	v_fma_f64 v[22:23], v[71:72], v[24:25], v[26:27]
	v_add_f64 v[26:27], v[40:41], v[44:45]
	v_fma_f64 v[24:25], v[38:39], v[32:33], v[34:35]
	v_add_f64 v[28:29], v[46:47], v[53:54]
	v_add_f64 v[38:39], v[44:45], v[0:1]
	v_fma_f64 v[18:19], v[36:37], v[32:33], -v[18:19]
	v_add_f64 v[30:31], v[4:5], -v[2:3]
	v_add_f64 v[32:33], v[12:13], -v[20:21]
	v_add_f64 v[59:60], v[42:43], v[4:5]
	v_add_f64 v[61:62], v[12:13], v[20:21]
	v_add_f64 v[65:66], v[4:5], -v[12:13]
	v_add_f64 v[69:70], v[4:5], v[2:3]
	v_add_f64 v[4:5], v[12:13], -v[4:5]
	v_add_f64 v[71:72], v[20:21], -v[2:3]
	v_add_f64 v[79:80], v[10:11], v[14:15]
	v_add_f64 v[26:27], v[26:27], v[46:47]
	v_fma_f64 v[28:29], v[28:29], -0.5, v[40:41]
	v_fma_f64 v[38:39], v[38:39], -0.5, v[40:41]
	v_add_f64 v[34:35], v[44:45], -v[46:47]
	v_add_f64 v[36:37], v[0:1], -v[53:54]
	;; [unrolled: 1-line block ×6, first 2 shown]
	v_add_f64 v[77:78], v[73:74], v[6:7]
	v_add_f64 v[46:47], v[8:9], -v[24:25]
	v_add_f64 v[12:13], v[59:60], v[12:13]
	v_fma_f64 v[40:41], v[61:62], -0.5, v[42:43]
	v_fma_f64 v[42:43], v[69:70], -0.5, v[42:43]
	v_add_f64 v[4:5], v[4:5], v[71:72]
	v_fma_f64 v[69:70], v[79:80], -0.5, v[73:74]
	v_add_f64 v[26:27], v[26:27], v[53:54]
	v_fma_f64 v[53:54], v[30:31], s[0:1], v[28:29]
	v_fma_f64 v[28:29], v[30:31], s[8:9], v[28:29]
	v_fma_f64 v[71:72], v[32:33], s[8:9], v[38:39]
	v_add_f64 v[67:68], v[2:3], -v[20:21]
	v_add_f64 v[34:35], v[34:35], v[36:37]
	v_add_f64 v[36:37], v[16:17], -v[22:23]
	v_add_f64 v[55:56], v[55:56], v[57:58]
	v_add_f64 v[57:58], v[6:7], -v[10:11]
	v_add_f64 v[59:60], v[18:19], -v[14:15]
	v_add_f64 v[61:62], v[77:78], v[10:11]
	v_fma_f64 v[38:39], v[32:33], s[0:1], v[38:39]
	v_add_f64 v[12:13], v[12:13], v[20:21]
	v_fma_f64 v[20:21], v[44:45], s[8:9], v[40:41]
	v_fma_f64 v[40:41], v[44:45], s[0:1], v[40:41]
	;; [unrolled: 1-line block ×5, first 2 shown]
	v_add_f64 v[26:27], v[26:27], v[0:1]
	v_fma_f64 v[0:1], v[32:33], s[4:5], v[53:54]
	v_fma_f64 v[28:29], v[32:33], s[10:11], v[28:29]
	v_fma_f64 v[32:33], v[30:31], s[4:5], v[71:72]
	v_add_f64 v[65:66], v[65:66], v[67:68]
	v_fma_f64 v[30:31], v[30:31], s[10:11], v[38:39]
	v_fma_f64 v[20:21], v[63:64], s[10:11], v[20:21]
	v_fma_f64 v[38:39], v[63:64], s[4:5], v[40:41]
	;; [unrolled: 4-line block ×3, first 2 shown]
	v_fma_f64 v[28:29], v[55:56], s[6:7], v[32:33]
	v_fma_f64 v[12:13], v[44:45], s[4:5], v[42:43]
	;; [unrolled: 1-line block ×3, first 2 shown]
	v_add_f64 v[42:43], v[57:58], v[59:60]
	v_add_f64 v[44:45], v[16:17], v[22:23]
	;; [unrolled: 1-line block ×3, first 2 shown]
	v_fma_f64 v[30:31], v[55:56], s[6:7], v[30:31]
	v_fma_f64 v[55:56], v[65:66], s[6:7], v[20:21]
	v_add_f64 v[20:21], v[61:62], v[14:15]
	v_fma_f64 v[61:62], v[4:5], s[6:7], v[12:13]
	v_fma_f64 v[57:58], v[4:5], s[6:7], v[2:3]
	v_fma_f64 v[12:13], v[42:43], s[6:7], v[32:33]
	v_fma_f64 v[32:33], v[44:45], -0.5, v[75:76]
	v_add_f64 v[44:45], v[6:7], -v[18:19]
	v_add_f64 v[4:5], v[8:9], v[24:25]
	v_fma_f64 v[38:39], v[65:66], s[6:7], v[38:39]
	v_fma_f64 v[0:1], v[67:68], -0.5, v[73:74]
	v_fma_f64 v[2:3], v[46:47], s[8:9], v[69:70]
	v_add_f64 v[20:21], v[20:21], v[18:19]
	v_add_f64 v[63:64], v[75:76], v[8:9]
	v_add_f64 v[65:66], v[10:11], -v[14:15]
	v_add_f64 v[6:7], v[10:11], -v[6:7]
	;; [unrolled: 1-line block ×3, first 2 shown]
	v_fma_f64 v[14:15], v[44:45], s[8:9], v[32:33]
	v_add_f64 v[18:19], v[8:9], -v[16:17]
	v_add_f64 v[67:68], v[24:25], -v[22:23]
	v_fma_f64 v[4:5], v[4:5], -0.5, v[75:76]
	v_fma_f64 v[59:60], v[36:37], s[8:9], v[0:1]
	v_fma_f64 v[2:3], v[36:37], s[10:11], v[2:3]
	v_fma_f64 v[0:1], v[36:37], s[0:1], v[0:1]
	v_add_f64 v[36:37], v[63:64], v[16:17]
	v_add_f64 v[8:9], v[16:17], -v[8:9]
	v_add_f64 v[16:17], v[22:23], -v[24:25]
	v_fma_f64 v[14:15], v[65:66], s[10:11], v[14:15]
	v_fma_f64 v[32:33], v[44:45], s[0:1], v[32:33]
	v_add_f64 v[18:19], v[18:19], v[67:68]
	v_fma_f64 v[63:64], v[65:66], s[0:1], v[4:5]
	v_fma_f64 v[4:5], v[65:66], s[8:9], v[4:5]
	;; [unrolled: 1-line block ×3, first 2 shown]
	v_add_f64 v[6:7], v[6:7], v[10:11]
	v_add_f64 v[8:9], v[8:9], v[16:17]
	v_add_f64 v[16:17], v[36:37], v[22:23]
	v_fma_f64 v[22:23], v[65:66], s[4:5], v[32:33]
	v_fma_f64 v[14:15], v[18:19], s[6:7], v[14:15]
	;; [unrolled: 1-line block ×7, first 2 shown]
	v_add_f64 v[42:43], v[16:17], v[24:25]
	v_fma_f64 v[16:17], v[18:19], s[6:7], v[22:23]
	v_mul_f64 v[18:19], v[14:15], s[4:5]
	v_fma_f64 v[10:11], v[8:9], s[6:7], v[10:11]
	v_fma_f64 v[6:7], v[6:7], s[6:7], v[0:1]
	;; [unrolled: 1-line block ×3, first 2 shown]
	v_mul_f64 v[24:25], v[2:3], s[12:13]
	v_add_f64 v[0:1], v[26:27], v[20:21]
	v_add_f64 v[20:21], v[26:27], -v[20:21]
	v_mul_f64 v[46:47], v[16:17], s[12:13]
	v_fma_f64 v[36:37], v[12:13], s[12:13], v[18:19]
	v_mul_f64 v[12:13], v[12:13], s[10:11]
	v_mul_f64 v[8:9], v[10:11], s[0:1]
	;; [unrolled: 1-line block ×5, first 2 shown]
	v_fma_f64 v[59:60], v[16:17], s[4:5], -v[24:25]
	v_fma_f64 v[46:47], v[2:3], s[10:11], -v[46:47]
	v_add_f64 v[2:3], v[40:41], v[42:43]
	v_fma_f64 v[63:64], v[14:15], s[12:13], v[12:13]
	v_fma_f64 v[32:33], v[32:33], s[6:7], v[8:9]
	;; [unrolled: 1-line block ×3, first 2 shown]
	v_fma_f64 v[22:23], v[4:5], s[0:1], -v[22:23]
	v_fma_f64 v[44:45], v[6:7], s[8:9], -v[44:45]
	v_add_f64 v[4:5], v[53:54], v[36:37]
	v_add_f64 v[16:17], v[34:35], v[59:60]
	;; [unrolled: 1-line block ×8, first 2 shown]
	v_add_f64 v[28:29], v[28:29], -v[32:33]
	v_add_f64 v[32:33], v[30:31], -v[22:23]
	;; [unrolled: 1-line block ×9, first 2 shown]
	ds_write_b128 v49, v[0:3]
	ds_write_b128 v49, v[4:7] offset:144
	ds_write_b128 v49, v[8:11] offset:288
	;; [unrolled: 1-line block ×9, first 2 shown]
	s_waitcnt lgkmcnt(0)
	; wave barrier
	s_waitcnt lgkmcnt(0)
	s_and_saveexec_b64 s[0:1], vcc
	s_cbranch_execz .LBB0_24
; %bb.23:
	v_lshl_add_u32 v10, v48, 4, v52
	v_mov_b32_e32 v49, 0
	ds_read_b128 v[0:3], v10
	v_mov_b32_e32 v4, s3
	v_add_co_u32_e32 v11, vcc, s2, v50
	v_addc_co_u32_e32 v12, vcc, v4, v51, vcc
	v_lshlrev_b64 v[4:5], 4, v[48:49]
	v_add_co_u32_e32 v8, vcc, v11, v4
	v_addc_co_u32_e32 v9, vcc, v12, v5, vcc
	ds_read_b128 v[4:7], v10 offset:144
	s_waitcnt lgkmcnt(1)
	global_store_dwordx4 v[8:9], v[0:3], off
	s_nop 0
	v_add_u32_e32 v0, 9, v48
	v_mov_b32_e32 v1, v49
	v_lshlrev_b64 v[0:1], 4, v[0:1]
	v_add_co_u32_e32 v0, vcc, v11, v0
	v_addc_co_u32_e32 v1, vcc, v12, v1, vcc
	s_waitcnt lgkmcnt(0)
	global_store_dwordx4 v[0:1], v[4:7], off
	ds_read_b128 v[0:3], v10 offset:288
	v_add_u32_e32 v4, 18, v48
	v_mov_b32_e32 v5, v49
	v_lshlrev_b64 v[4:5], 4, v[4:5]
	v_add_co_u32_e32 v8, vcc, v11, v4
	v_addc_co_u32_e32 v9, vcc, v12, v5, vcc
	ds_read_b128 v[4:7], v10 offset:432
	s_waitcnt lgkmcnt(1)
	global_store_dwordx4 v[8:9], v[0:3], off
	s_nop 0
	v_add_u32_e32 v0, 27, v48
	v_mov_b32_e32 v1, v49
	v_lshlrev_b64 v[0:1], 4, v[0:1]
	v_add_co_u32_e32 v0, vcc, v11, v0
	v_addc_co_u32_e32 v1, vcc, v12, v1, vcc
	s_waitcnt lgkmcnt(0)
	global_store_dwordx4 v[0:1], v[4:7], off
	ds_read_b128 v[0:3], v10 offset:576
	v_add_u32_e32 v4, 36, v48
	v_mov_b32_e32 v5, v49
	;; [unrolled: 17-line block ×4, first 2 shown]
	v_lshlrev_b64 v[4:5], 4, v[4:5]
	v_add_u32_e32 v48, 0x51, v48
	v_add_co_u32_e32 v8, vcc, v11, v4
	v_addc_co_u32_e32 v9, vcc, v12, v5, vcc
	ds_read_b128 v[4:7], v10 offset:1296
	s_waitcnt lgkmcnt(1)
	global_store_dwordx4 v[8:9], v[0:3], off
	s_nop 0
	v_lshlrev_b64 v[0:1], 4, v[48:49]
	v_add_co_u32_e32 v0, vcc, v11, v0
	v_addc_co_u32_e32 v1, vcc, v12, v1, vcc
	s_waitcnt lgkmcnt(0)
	global_store_dwordx4 v[0:1], v[4:7], off
.LBB0_24:
	s_endpgm
	.section	.rodata,"a",@progbits
	.p2align	6, 0x0
	.amdhsa_kernel fft_rtc_fwd_len90_factors_3_3_10_wgs_63_tpt_9_halfLds_dp_ip_CI_unitstride_sbrr_C2R_dirReg
		.amdhsa_group_segment_fixed_size 0
		.amdhsa_private_segment_fixed_size 0
		.amdhsa_kernarg_size 88
		.amdhsa_user_sgpr_count 6
		.amdhsa_user_sgpr_private_segment_buffer 1
		.amdhsa_user_sgpr_dispatch_ptr 0
		.amdhsa_user_sgpr_queue_ptr 0
		.amdhsa_user_sgpr_kernarg_segment_ptr 1
		.amdhsa_user_sgpr_dispatch_id 0
		.amdhsa_user_sgpr_flat_scratch_init 0
		.amdhsa_user_sgpr_private_segment_size 0
		.amdhsa_uses_dynamic_stack 0
		.amdhsa_system_sgpr_private_segment_wavefront_offset 0
		.amdhsa_system_sgpr_workgroup_id_x 1
		.amdhsa_system_sgpr_workgroup_id_y 0
		.amdhsa_system_sgpr_workgroup_id_z 0
		.amdhsa_system_sgpr_workgroup_info 0
		.amdhsa_system_vgpr_workitem_id 0
		.amdhsa_next_free_vgpr 89
		.amdhsa_next_free_sgpr 22
		.amdhsa_reserve_vcc 1
		.amdhsa_reserve_flat_scratch 0
		.amdhsa_float_round_mode_32 0
		.amdhsa_float_round_mode_16_64 0
		.amdhsa_float_denorm_mode_32 3
		.amdhsa_float_denorm_mode_16_64 3
		.amdhsa_dx10_clamp 1
		.amdhsa_ieee_mode 1
		.amdhsa_fp16_overflow 0
		.amdhsa_exception_fp_ieee_invalid_op 0
		.amdhsa_exception_fp_denorm_src 0
		.amdhsa_exception_fp_ieee_div_zero 0
		.amdhsa_exception_fp_ieee_overflow 0
		.amdhsa_exception_fp_ieee_underflow 0
		.amdhsa_exception_fp_ieee_inexact 0
		.amdhsa_exception_int_div_zero 0
	.end_amdhsa_kernel
	.text
.Lfunc_end0:
	.size	fft_rtc_fwd_len90_factors_3_3_10_wgs_63_tpt_9_halfLds_dp_ip_CI_unitstride_sbrr_C2R_dirReg, .Lfunc_end0-fft_rtc_fwd_len90_factors_3_3_10_wgs_63_tpt_9_halfLds_dp_ip_CI_unitstride_sbrr_C2R_dirReg
                                        ; -- End function
	.section	.AMDGPU.csdata,"",@progbits
; Kernel info:
; codeLenInByte = 6852
; NumSgprs: 26
; NumVgprs: 89
; ScratchSize: 0
; MemoryBound: 0
; FloatMode: 240
; IeeeMode: 1
; LDSByteSize: 0 bytes/workgroup (compile time only)
; SGPRBlocks: 3
; VGPRBlocks: 22
; NumSGPRsForWavesPerEU: 26
; NumVGPRsForWavesPerEU: 89
; Occupancy: 2
; WaveLimiterHint : 1
; COMPUTE_PGM_RSRC2:SCRATCH_EN: 0
; COMPUTE_PGM_RSRC2:USER_SGPR: 6
; COMPUTE_PGM_RSRC2:TRAP_HANDLER: 0
; COMPUTE_PGM_RSRC2:TGID_X_EN: 1
; COMPUTE_PGM_RSRC2:TGID_Y_EN: 0
; COMPUTE_PGM_RSRC2:TGID_Z_EN: 0
; COMPUTE_PGM_RSRC2:TIDIG_COMP_CNT: 0
	.type	__hip_cuid_b19e3f1bb2b6f14e,@object ; @__hip_cuid_b19e3f1bb2b6f14e
	.section	.bss,"aw",@nobits
	.globl	__hip_cuid_b19e3f1bb2b6f14e
__hip_cuid_b19e3f1bb2b6f14e:
	.byte	0                               ; 0x0
	.size	__hip_cuid_b19e3f1bb2b6f14e, 1

	.ident	"AMD clang version 19.0.0git (https://github.com/RadeonOpenCompute/llvm-project roc-6.4.0 25133 c7fe45cf4b819c5991fe208aaa96edf142730f1d)"
	.section	".note.GNU-stack","",@progbits
	.addrsig
	.addrsig_sym __hip_cuid_b19e3f1bb2b6f14e
	.amdgpu_metadata
---
amdhsa.kernels:
  - .args:
      - .actual_access:  read_only
        .address_space:  global
        .offset:         0
        .size:           8
        .value_kind:     global_buffer
      - .offset:         8
        .size:           8
        .value_kind:     by_value
      - .actual_access:  read_only
        .address_space:  global
        .offset:         16
        .size:           8
        .value_kind:     global_buffer
      - .actual_access:  read_only
        .address_space:  global
        .offset:         24
        .size:           8
        .value_kind:     global_buffer
      - .offset:         32
        .size:           8
        .value_kind:     by_value
      - .actual_access:  read_only
        .address_space:  global
        .offset:         40
        .size:           8
        .value_kind:     global_buffer
      - .actual_access:  read_only
        .address_space:  global
        .offset:         48
        .size:           8
        .value_kind:     global_buffer
      - .offset:         56
        .size:           4
        .value_kind:     by_value
      - .actual_access:  read_only
        .address_space:  global
        .offset:         64
        .size:           8
        .value_kind:     global_buffer
      - .actual_access:  read_only
        .address_space:  global
        .offset:         72
        .size:           8
        .value_kind:     global_buffer
      - .address_space:  global
        .offset:         80
        .size:           8
        .value_kind:     global_buffer
    .group_segment_fixed_size: 0
    .kernarg_segment_align: 8
    .kernarg_segment_size: 88
    .language:       OpenCL C
    .language_version:
      - 2
      - 0
    .max_flat_workgroup_size: 63
    .name:           fft_rtc_fwd_len90_factors_3_3_10_wgs_63_tpt_9_halfLds_dp_ip_CI_unitstride_sbrr_C2R_dirReg
    .private_segment_fixed_size: 0
    .sgpr_count:     26
    .sgpr_spill_count: 0
    .symbol:         fft_rtc_fwd_len90_factors_3_3_10_wgs_63_tpt_9_halfLds_dp_ip_CI_unitstride_sbrr_C2R_dirReg.kd
    .uniform_work_group_size: 1
    .uses_dynamic_stack: false
    .vgpr_count:     89
    .vgpr_spill_count: 0
    .wavefront_size: 64
amdhsa.target:   amdgcn-amd-amdhsa--gfx906
amdhsa.version:
  - 1
  - 2
...

	.end_amdgpu_metadata
